;; amdgpu-corpus repo=ROCm/aiter kind=harvested arch=n/a opt=n/a

/root/src/amdgpu-assembly/repos/ROCm__aiter/hsa/gfx942/fmha_v3_bwd/bwd_hd192_dq_convert_bf16_rtne.co:	file format elf64-amdgpu

Disassembly of section .text:

0000000000002100 <_ZN5aiter35fmha_bwd_hd192_dq_convert_bf16_rtneE>:
	s_and_b32 s1, s1, 0xffff                                   // 000000002100: 8601FF01 0000FFFF
	s_load_dwordx2 s[12:13], s[0:1], 0x0                       // 000000002108: C0060300 00000000
	s_load_dwordx2 s[16:17], s[0:1], 0x10                      // 000000002110: C0060400 00000010
	s_load_dword s6, s[0:1], 0x20                              // 000000002118: C0020180 00000020
	s_load_dword s8, s[0:1], 0x40                              // 000000002120: C0020200 00000040
	s_load_dword s9, s[0:1], 0x50                              // 000000002128: C0020240 00000050
	s_load_dword s11, s[0:1], 0x70                             // 000000002130: C00202C0 00000070
	s_load_dword s34, s[0:1], 0x90                             // 000000002138: C0020880 00000090
	s_load_dword s7, s[0:1], 0x30                              // 000000002140: C00201C0 00000030
	s_load_dword s10, s[0:1], 0x60                             // 000000002148: C0020280 00000060
	s_load_dword s35, s[0:1], 0x80                             // 000000002150: C00208C0 00000080
	v_lshrrev_b32_e32 v1, 10, v0                               // 000000002158: 2002008A
	v_lshrrev_b32_e32 v2, 10, v1                               // 00000000215C: 2004028A
	v_and_b32_e32 v2, 0x3ff, v2                                // 000000002160: 260404FF 000003FF
	v_and_b32_e32 v1, 0x3ff, v1                                // 000000002168: 260202FF 000003FF
	v_and_b32_e32 v0, 0x3ff, v0                                // 000000002170: 260000FF 000003FF
	v_lshrrev_b32_e32 v3, 6, v0                                // 000000002178: 20060086
	v_and_b32_e32 v0, 63, v0                                   // 00000000217C: 260000BF
	s_mov_b32 s2, s2                                           // 000000002180: BE820002
	s_mov_b32 s3, s3                                           // 000000002184: BE830003
	s_mov_b32 s4, s4                                           // 000000002188: BE840004
	v_readfirstlane_b32 s24, v3                                // 00000000218C: 7E300503
	s_waitcnt lgkmcnt(0)                                       // 000000002190: BF8CC07F
	s_mov_b32 s15, 0x20000                                     // 000000002194: BE8F00FF 00020000
	s_mov_b32 s19, 0x20000                                     // 00000000219C: BE9300FF 00020000
	s_and_b32 s13, s13, 0xffff                                 // 0000000021A4: 860DFF0D 0000FFFF
	s_and_b32 s17, s17, 0xffff                                 // 0000000021AC: 8611FF11 0000FFFF
	s_or_b32 s13, s13, 0x40000                                 // 0000000021B4: 870DFF0D 00040000
	s_or_b32 s17, s17, 0x40000                                 // 0000000021BC: 8711FF11 00040000
	v_mov_b32_e32 v33, 0                                       // 0000000021C4: 7E420280
	s_mov_b32 s20, s12                                         // 0000000021C8: BE94000C
	s_mov_b32 s21, s13                                         // 0000000021CC: BE95000D
	s_mov_b32 s22, s16                                         // 0000000021D0: BE960010
	s_mov_b32 s23, s17                                         // 0000000021D4: BE970011
	s_mov_b32 s38, 0x7060302                                   // 0000000021D8: BEA600FF 07060302
	s_mul_i32 s25, s8, 64                                      // 0000000021E0: 9219C008
	s_mul_i32 s25, s2, s25                                     // 0000000021E4: 92191902
	s_mul_i32 s26, s35, s8                                     // 0000000021E8: 921A0823
	s_sub_i32 s26, s26, s25                                    // 0000000021EC: 819A191A
	s_mov_b32 s14, s26                                         // 0000000021F0: BE8E001A
	s_add_u32 s12, s25, s20                                    // 0000000021F4: 800C1419
	s_addc_u32 s13, 0, s21                                     // 0000000021F8: 820D1580
	s_mul_i32 s25, s3, s6                                      // 0000000021FC: 92190603
	s_mul_hi_u32 s26, s3, s6                                   // 000000002200: 961A0603
	s_and_b32 s26, s26, 0xffff                                 // 000000002204: 861AFF1A 0000FFFF
	s_add_u32 s12, s12, s25                                    // 00000000220C: 800C190C
	s_addc_u32 s13, s13, s26                                   // 000000002210: 820D1A0D
	s_mul_i32 s25, s4, s7                                      // 000000002214: 92190704
	s_mul_hi_u32 s26, s4, s7                                   // 000000002218: 961A0704
	s_and_b32 s26, s26, 0xffff                                 // 00000000221C: 861AFF1A 0000FFFF
	s_add_u32 s12, s12, s25                                    // 000000002224: 800C190C
	s_addc_u32 s13, s13, s26                                   // 000000002228: 820D1A0D
	s_mul_i32 s25, s11, 64                                     // 00000000222C: 9219C00B
	s_mul_i32 s25, s2, s25                                     // 000000002230: 92191902
	s_mul_i32 s26, s35, s11                                    // 000000002234: 921A0B23
	s_sub_i32 s26, s26, s25                                    // 000000002238: 819A191A
	s_mov_b32 s18, s26                                         // 00000000223C: BE92001A
	s_add_u32 s16, s25, s22                                    // 000000002240: 80101619
	s_addc_u32 s17, 0, s23                                     // 000000002244: 82111780
	s_mul_i32 s25, s3, s9                                      // 000000002248: 92190903
	s_mul_hi_u32 s26, s3, s9                                   // 00000000224C: 961A0903
	s_and_b32 s26, s26, 0xffff                                 // 000000002250: 861AFF1A 0000FFFF
	s_add_u32 s16, s16, s25                                    // 000000002258: 80101910
	s_addc_u32 s17, s17, s26                                   // 00000000225C: 82111A11
	s_mul_i32 s25, s4, s10                                     // 000000002260: 92190A04
	s_mul_hi_u32 s26, s4, s10                                  // 000000002264: 961A0A04
	s_and_b32 s26, s26, 0xffff                                 // 000000002268: 861AFF1A 0000FFFF
	s_add_u32 s16, s16, s25                                    // 000000002270: 80101910
	s_addc_u32 s17, s17, s26                                   // 000000002274: 82111A11
	v_readfirstlane_b32 s24, v3                                // 000000002278: 7E300503
	v_lshrrev_b32_e32 v26, 4, v0                               // 00000000227C: 20340084
	v_mul_i32_i24_e32 v26, s8, v26                             // 000000002280: 0C343408
	v_and_b32_e32 v27, 15, v0                                  // 000000002284: 2636008F
	v_mul_i32_i24_e32 v27, 16, v27                             // 000000002288: 0C363690
	v_add_u32_e32 v27, v26, v27                                // 00000000228C: 6836371A
	v_mov_b32_e32 v4, v27                                      // 000000002290: 7E08031B
	s_mul_i32 s25, 16, s8                                      // 000000002294: 92190890
	s_mul_i32 s25, s24, s25                                    // 000000002298: 92191918
	v_add_u32_e32 v4, s25, v4                                  // 00000000229C: 68080819
	v_mov_b32_e32 v6, 0                                        // 0000000022A0: 7E0C0280
	v_lshrrev_b32_e32 v26, 5, v0                               // 0000000022A4: 20340085
	v_lshlrev_b32_e32 v26, 1, v26                              // 0000000022A8: 24343481
	v_mul_i32_i24_e32 v26, s11, v26                            // 0000000022AC: 0C34340B
	v_and_b32_e32 v27, 15, v0                                  // 0000000022B0: 2636008F
	v_lshlrev_b32_e32 v27, 3, v27                              // 0000000022B4: 24363683
	v_and_b32_e32 v28, 31, v0                                  // 0000000022B8: 2638009F
	v_lshrrev_b32_e32 v28, 4, v28                              // 0000000022BC: 20383884
	v_lshlrev_b32_e32 v28, 2, v28                              // 0000000022C0: 24383882
	v_add_u32_e32 v6, v26, v6                                  // 0000000022C4: 680C0D1A
	v_add_u32_e32 v6, v27, v6                                  // 0000000022C8: 680C0D1B
	v_add_u32_e32 v6, v28, v6                                  // 0000000022CC: 680C0D1C
	s_mul_i32 s25, 16, s11                                     // 0000000022D0: 92190B90
	s_mul_i32 s25, s24, s25                                    // 0000000022D4: 92191918
	v_add_u32_e32 v6, s25, v6                                  // 0000000022D8: 680C0C19
	v_and_b32_e32 v26, 15, v0                                  // 0000000022DC: 2634008F
	v_lshlrev_b32_e32 v26, 2, v26                              // 0000000022E0: 24343482
	s_sub_i32 s25, s34, 0x80                                   // 0000000022E4: 8199FF22 00000080
	v_cmp_lt_u32_e64 s[30:31], v26, s25                        // 0000000022EC: D0C9001E 0000331A
	v_and_b32_e32 v26, 15, v0                                  // 0000000022F4: 2634008F
	v_lshrrev_b32_e32 v26, 1, v26                              // 0000000022F8: 20343481
	v_lshlrev_b32_e32 v26, 3, v26                              // 0000000022FC: 24343483
	s_sub_i32 s25, s34, 0x80                                   // 000000002300: 8199FF22 00000080
	v_cmp_lt_u32_e64 s[32:33], v26, s25                        // 000000002308: D0C90020 0000331A
	v_mov_b32_e32 v30, 0xffff0000                              // 000000002310: 7E3C02FF FFFF0000
	v_mov_b32_e32 v31, 0x7fff0000                              // 000000002318: 7E3E02FF 7FFF0000
	v_mov_b32_e32 v32, 0x7fff                                  // 000000002320: 7E4002FF 00007FFF
	s_mul_i32 s25, s8, 0                                       // 000000002328: 92198008
	s_lshl_b32 s25, s25, 2                                     // 00000000232C: 8E198219
	v_add_u32_e32 v5, s25, v4                                  // 000000002330: 680A0819
	buffer_load_dwordx4 v[8:11], v5, s[12:15], 0 offen         // 000000002334: E05C1000 80030805
	v_add_u32_e32 v5, 0x100, v5                                // 00000000233C: 680A0AFF 00000100
	s_waitcnt vmcnt(0) expcnt(0) lgkmcnt(0)                    // 000000002344: BF8C0000
	s_barrier                                                  // 000000002348: BF8A0000
	v_cmp_u_f32_e64 s[36:37], v8, v8                           // 00000000234C: D0480024 00021108
	v_bfe_u32 v29, v8, 16, 1                                   // 000000002354: D1C8001D 02052108
	v_add3_u32 v29, v8, v29, v32                               // 00000000235C: D1FF001D 04823B08
	v_cndmask_b32_e64 v26, v29, v31, s[36:37]                  // 000000002364: D100001A 00923F1D
	v_lshrrev_b32_e32 v26, 16, v26                             // 00000000236C: 20343490
	v_cmp_u_f32_e64 s[36:37], v9, v9                           // 000000002370: D0480024 00021309
	v_bfe_u32 v29, v9, 16, 1                                   // 000000002378: D1C8001D 02052109
	v_add3_u32 v29, v9, v29, v32                               // 000000002380: D1FF001D 04823B09
	v_cndmask_b32_e64 v27, v29, v31, s[36:37]                  // 000000002388: D100001B 00923F1D
	v_and_or_b32 v20, v27, v30, v26                            // 000000002390: D2010014 046A3D1B
	v_cmp_u_f32_e64 s[36:37], v10, v10                         // 000000002398: D0480024 0002150A
	v_bfe_u32 v29, v10, 16, 1                                  // 0000000023A0: D1C8001D 0205210A
	v_add3_u32 v29, v10, v29, v32                              // 0000000023A8: D1FF001D 04823B0A
	v_cndmask_b32_e64 v26, v29, v31, s[36:37]                  // 0000000023B0: D100001A 00923F1D
	v_lshrrev_b32_e32 v26, 16, v26                             // 0000000023B8: 20343490
	v_cmp_u_f32_e64 s[36:37], v11, v11                         // 0000000023BC: D0480024 0002170B
	v_bfe_u32 v29, v11, 16, 1                                  // 0000000023C4: D1C8001D 0205210B
	v_add3_u32 v29, v11, v29, v32                              // 0000000023CC: D1FF001D 04823B0B
	v_cndmask_b32_e64 v27, v29, v31, s[36:37]                  // 0000000023D4: D100001B 00923F1D
	v_and_or_b32 v21, v27, v30, v26                            // 0000000023DC: D2010015 046A3D1B
	s_nop 1                                                    // 0000000023E4: BF800001
	s_mul_i32 s25, s24, 0x100                                  // 0000000023E8: 9219FF18 00000100
	s_lshl_b32 s25, s25, 2                                     // 0000000023F0: 8E198219
	v_mov_b32_e32 v26, v0                                      // 0000000023F4: 7E340300
	v_lshlrev_b32_e32 v26, 2, v26                              // 0000000023F8: 24343482
	v_add_u32_e64 v26, v26, s25                                // 0000000023FC: D134001A 0000331A
	v_add_u32_e32 v27, 0x100, v26                              // 000000002404: 683634FF 00000100
	ds_write_b32 v26, v20                                      // 00000000240C: D81A0000 0000141A
	ds_write_b32 v27, v21                                      // 000000002414: D81A0000 0000151B
	s_barrier                                                  // 00000000241C: BF8A0000
	v_lshrrev_b32_e32 v26, 4, v0                               // 000000002420: 20340084
	v_and_b32_e64 v27, v26, 1                                  // 000000002424: D113001B 0001031A
	v_lshrrev_b32_e32 v28, 1, v26                              // 00000000242C: 20383481
	v_lshlrev_b32_e32 v26, 1, v27                              // 000000002430: 24343681
	v_add_u32_e32 v26, v26, v28                                // 000000002434: 6834391A
	v_lshlrev_b32_e32 v26, 7, v26                              // 000000002438: 24343487
	v_and_b32_e64 v27, v0, 15                                  // 00000000243C: D113001B 00011F00
	v_lshlrev_b32_e32 v27, 2, v27                              // 000000002444: 24363682
	v_add_u32_e32 v26, v27, v26                                // 000000002448: 6834351B
	v_add_u32_e64 v26, v26, s25                                // 00000000244C: D134001A 0000331A
	v_add_u32_e32 v27, 64, v26                                 // 000000002454: 683634C0
	ds_read_b32 v20, v26                                       // 000000002458: D86C0000 1400001A
	ds_read_b32 v21, v27                                       // 000000002460: D86C0000 1500001B
	s_barrier                                                  // 000000002468: BF8A0000
	s_nop 1                                                    // 00000000246C: BF800001
	s_mul_i32 s25, s11, 0                                      // 000000002470: 9219800B
	s_lshl_b32 s25, s25, 2                                     // 000000002474: 8E198219
	s_lshl_b32 s26, 0, 7                                       // 000000002478: 8E1A8780
	v_add_u32_e32 v7, s25, v6                                  // 00000000247C: 680E0C19
	v_add_u32_e32 v7, s26, v7                                  // 000000002480: 680E0E1A
	buffer_store_dword v20, v7, s[16:19], 0 offen              // 000000002484: E0701000 80041407
	v_add_u32_e32 v7, s11, v7                                  // 00000000248C: 680E0E0B
	buffer_store_dword v21, v7, s[16:19], 0 offen              // 000000002490: E0701000 80041507
	buffer_load_dwordx4 v[12:15], v5, s[12:15], 0 offen        // 000000002498: E05C1000 80030C05
	v_add_u32_e32 v5, 0x100, v5                                // 0000000024A0: 680A0AFF 00000100
	s_waitcnt vmcnt(0) expcnt(0) lgkmcnt(0)                    // 0000000024A8: BF8C0000
	s_barrier                                                  // 0000000024AC: BF8A0000
	v_cmp_u_f32_e64 s[36:37], v12, v12                         // 0000000024B0: D0480024 0002190C
	v_bfe_u32 v29, v12, 16, 1                                  // 0000000024B8: D1C8001D 0205210C
	v_add3_u32 v29, v12, v29, v32                              // 0000000024C0: D1FF001D 04823B0C
	v_cndmask_b32_e64 v26, v29, v31, s[36:37]                  // 0000000024C8: D100001A 00923F1D
	v_lshrrev_b32_e32 v26, 16, v26                             // 0000000024D0: 20343490
	v_cmp_u_f32_e64 s[36:37], v13, v13                         // 0000000024D4: D0480024 00021B0D
	v_bfe_u32 v29, v13, 16, 1                                  // 0000000024DC: D1C8001D 0205210D
	v_add3_u32 v29, v13, v29, v32                              // 0000000024E4: D1FF001D 04823B0D
	v_cndmask_b32_e64 v27, v29, v31, s[36:37]                  // 0000000024EC: D100001B 00923F1D
	v_and_or_b32 v22, v27, v30, v26                            // 0000000024F4: D2010016 046A3D1B
	v_cmp_u_f32_e64 s[36:37], v14, v14                         // 0000000024FC: D0480024 00021D0E
	v_bfe_u32 v29, v14, 16, 1                                  // 000000002504: D1C8001D 0205210E
	v_add3_u32 v29, v14, v29, v32                              // 00000000250C: D1FF001D 04823B0E
	v_cndmask_b32_e64 v26, v29, v31, s[36:37]                  // 000000002514: D100001A 00923F1D
	v_lshrrev_b32_e32 v26, 16, v26                             // 00000000251C: 20343490
	v_cmp_u_f32_e64 s[36:37], v15, v15                         // 000000002520: D0480024 00021F0F
	v_bfe_u32 v29, v15, 16, 1                                  // 000000002528: D1C8001D 0205210F
	v_add3_u32 v29, v15, v29, v32                              // 000000002530: D1FF001D 04823B0F
	v_cndmask_b32_e64 v27, v29, v31, s[36:37]                  // 000000002538: D100001B 00923F1D
	v_and_or_b32 v23, v27, v30, v26                            // 000000002540: D2010017 046A3D1B
	s_nop 1                                                    // 000000002548: BF800001
	s_mul_i32 s25, s24, 0x100                                  // 00000000254C: 9219FF18 00000100
	s_lshl_b32 s25, s25, 2                                     // 000000002554: 8E198219
	v_mov_b32_e32 v26, v0                                      // 000000002558: 7E340300
	v_lshlrev_b32_e32 v26, 2, v26                              // 00000000255C: 24343482
	v_add_u32_e64 v26, v26, s25                                // 000000002560: D134001A 0000331A
	v_add_u32_e32 v27, 0x100, v26                              // 000000002568: 683634FF 00000100
	ds_write_b32 v26, v22                                      // 000000002570: D81A0000 0000161A
	ds_write_b32 v27, v23                                      // 000000002578: D81A0000 0000171B
	s_barrier                                                  // 000000002580: BF8A0000
	v_lshrrev_b32_e32 v26, 4, v0                               // 000000002584: 20340084
	v_and_b32_e64 v27, v26, 1                                  // 000000002588: D113001B 0001031A
	v_lshrrev_b32_e32 v28, 1, v26                              // 000000002590: 20383481
	v_lshlrev_b32_e32 v26, 1, v27                              // 000000002594: 24343681
	v_add_u32_e32 v26, v26, v28                                // 000000002598: 6834391A
	v_lshlrev_b32_e32 v26, 7, v26                              // 00000000259C: 24343487
	v_and_b32_e64 v27, v0, 15                                  // 0000000025A0: D113001B 00011F00
	v_lshlrev_b32_e32 v27, 2, v27                              // 0000000025A8: 24363682
	v_add_u32_e32 v26, v27, v26                                // 0000000025AC: 6834351B
	v_add_u32_e64 v26, v26, s25                                // 0000000025B0: D134001A 0000331A
	v_add_u32_e32 v27, 64, v26                                 // 0000000025B8: 683634C0
	ds_read_b32 v22, v26                                       // 0000000025BC: D86C0000 1600001A
	ds_read_b32 v23, v27                                       // 0000000025C4: D86C0000 1700001B
	s_barrier                                                  // 0000000025CC: BF8A0000
	s_nop 1                                                    // 0000000025D0: BF800001
	s_mul_i32 s25, s11, 0                                      // 0000000025D4: 9219800B
	s_lshl_b32 s25, s25, 2                                     // 0000000025D8: 8E198219
	s_lshl_b32 s26, 1, 7                                       // 0000000025DC: 8E1A8781
	v_add_u32_e32 v7, s25, v6                                  // 0000000025E0: 680E0C19
	v_add_u32_e32 v7, s26, v7                                  // 0000000025E4: 680E0E1A
	buffer_store_dword v22, v7, s[16:19], 0 offen              // 0000000025E8: E0701000 80041607
	v_add_u32_e32 v7, s11, v7                                  // 0000000025F0: 680E0E0B
	buffer_store_dword v23, v7, s[16:19], 0 offen              // 0000000025F4: E0701000 80041707
	v_mov_b32_e32 v16, 0                                       // 0000000025FC: 7E200280
	v_mov_b32_e32 v17, 0                                       // 000000002600: 7E220280
	v_mov_b32_e32 v18, 0                                       // 000000002604: 7E240280
	v_mov_b32_e32 v19, 0                                       // 000000002608: 7E260280
	s_mov_b64 exec, s[30:31]                                   // 00000000260C: BEFE011E
	buffer_load_dwordx4 v[16:19], v5, s[12:15], 0 offen        // 000000002610: E05C1000 80031005
	s_mov_b64 exec, -1                                         // 000000002618: BEFE01C1
	v_add_u32_e32 v5, 0x100, v5                                // 00000000261C: 680A0AFF 00000100
	s_waitcnt vmcnt(0) expcnt(0) lgkmcnt(0)                    // 000000002624: BF8C0000
	s_barrier                                                  // 000000002628: BF8A0000
	v_cmp_u_f32_e64 s[36:37], v16, v16                         // 00000000262C: D0480024 00022110
	v_bfe_u32 v29, v16, 16, 1                                  // 000000002634: D1C8001D 02052110
	v_add3_u32 v29, v16, v29, v32                              // 00000000263C: D1FF001D 04823B10
	v_cndmask_b32_e64 v26, v29, v31, s[36:37]                  // 000000002644: D100001A 00923F1D
	v_lshrrev_b32_e32 v26, 16, v26                             // 00000000264C: 20343490
	v_cmp_u_f32_e64 s[36:37], v17, v17                         // 000000002650: D0480024 00022311
	v_bfe_u32 v29, v17, 16, 1                                  // 000000002658: D1C8001D 02052111
	v_add3_u32 v29, v17, v29, v32                              // 000000002660: D1FF001D 04823B11
	v_cndmask_b32_e64 v27, v29, v31, s[36:37]                  // 000000002668: D100001B 00923F1D
	v_and_or_b32 v24, v27, v30, v26                            // 000000002670: D2010018 046A3D1B
	v_cmp_u_f32_e64 s[36:37], v18, v18                         // 000000002678: D0480024 00022512
	v_bfe_u32 v29, v18, 16, 1                                  // 000000002680: D1C8001D 02052112
	v_add3_u32 v29, v18, v29, v32                              // 000000002688: D1FF001D 04823B12
	v_cndmask_b32_e64 v26, v29, v31, s[36:37]                  // 000000002690: D100001A 00923F1D
	v_lshrrev_b32_e32 v26, 16, v26                             // 000000002698: 20343490
	v_cmp_u_f32_e64 s[36:37], v19, v19                         // 00000000269C: D0480024 00022713
	v_bfe_u32 v29, v19, 16, 1                                  // 0000000026A4: D1C8001D 02052113
	v_add3_u32 v29, v19, v29, v32                              // 0000000026AC: D1FF001D 04823B13
	v_cndmask_b32_e64 v27, v29, v31, s[36:37]                  // 0000000026B4: D100001B 00923F1D
	v_and_or_b32 v25, v27, v30, v26                            // 0000000026BC: D2010019 046A3D1B
	s_nop 1                                                    // 0000000026C4: BF800001
	s_mul_i32 s25, s24, 0x100                                  // 0000000026C8: 9219FF18 00000100
	s_lshl_b32 s25, s25, 2                                     // 0000000026D0: 8E198219
	v_mov_b32_e32 v26, v0                                      // 0000000026D4: 7E340300
	v_lshlrev_b32_e32 v26, 2, v26                              // 0000000026D8: 24343482
	v_add_u32_e64 v26, v26, s25                                // 0000000026DC: D134001A 0000331A
	v_add_u32_e32 v27, 0x100, v26                              // 0000000026E4: 683634FF 00000100
	ds_write_b32 v26, v24                                      // 0000000026EC: D81A0000 0000181A
	ds_write_b32 v27, v25                                      // 0000000026F4: D81A0000 0000191B
	s_barrier                                                  // 0000000026FC: BF8A0000
	v_lshrrev_b32_e32 v26, 4, v0                               // 000000002700: 20340084
	v_and_b32_e64 v27, v26, 1                                  // 000000002704: D113001B 0001031A
	v_lshrrev_b32_e32 v28, 1, v26                              // 00000000270C: 20383481
	v_lshlrev_b32_e32 v26, 1, v27                              // 000000002710: 24343681
	v_add_u32_e32 v26, v26, v28                                // 000000002714: 6834391A
	v_lshlrev_b32_e32 v26, 7, v26                              // 000000002718: 24343487
	v_and_b32_e64 v27, v0, 15                                  // 00000000271C: D113001B 00011F00
	v_lshlrev_b32_e32 v27, 2, v27                              // 000000002724: 24363682
	v_add_u32_e32 v26, v27, v26                                // 000000002728: 6834351B
	v_add_u32_e64 v26, v26, s25                                // 00000000272C: D134001A 0000331A
	v_add_u32_e32 v27, 64, v26                                 // 000000002734: 683634C0
	ds_read_b32 v24, v26                                       // 000000002738: D86C0000 1800001A
	ds_read_b32 v25, v27                                       // 000000002740: D86C0000 1900001B
	s_barrier                                                  // 000000002748: BF8A0000
	s_nop 1                                                    // 00000000274C: BF800001
	s_mul_i32 s25, s11, 0                                      // 000000002750: 9219800B
	s_lshl_b32 s25, s25, 2                                     // 000000002754: 8E198219
	s_lshl_b32 s26, 2, 7                                       // 000000002758: 8E1A8782
	v_add_u32_e32 v7, s25, v6                                  // 00000000275C: 680E0C19
	v_add_u32_e32 v7, s26, v7                                  // 000000002760: 680E0E1A
	s_mov_b64 exec, s[32:33]                                   // 000000002764: BEFE0120
	buffer_store_dword v24, v7, s[16:19], 0 offen              // 000000002768: E0701000 80041807
	v_add_u32_e32 v7, s11, v7                                  // 000000002770: 680E0E0B
	buffer_store_dword v25, v7, s[16:19], 0 offen              // 000000002774: E0701000 80041907
	s_mov_b64 exec, -1                                         // 00000000277C: BEFE01C1
	s_mul_i32 s25, s8, 1                                       // 000000002780: 92198108
	s_lshl_b32 s25, s25, 2                                     // 000000002784: 8E198219
	v_add_u32_e32 v5, s25, v4                                  // 000000002788: 680A0819
	buffer_load_dwordx4 v[8:11], v5, s[12:15], 0 offen         // 00000000278C: E05C1000 80030805
	v_add_u32_e32 v5, 0x100, v5                                // 000000002794: 680A0AFF 00000100
	s_waitcnt vmcnt(0) expcnt(0) lgkmcnt(0)                    // 00000000279C: BF8C0000
	s_barrier                                                  // 0000000027A0: BF8A0000
	v_cmp_u_f32_e64 s[36:37], v8, v8                           // 0000000027A4: D0480024 00021108
	v_bfe_u32 v29, v8, 16, 1                                   // 0000000027AC: D1C8001D 02052108
	v_add3_u32 v29, v8, v29, v32                               // 0000000027B4: D1FF001D 04823B08
	v_cndmask_b32_e64 v26, v29, v31, s[36:37]                  // 0000000027BC: D100001A 00923F1D
	v_lshrrev_b32_e32 v26, 16, v26                             // 0000000027C4: 20343490
	v_cmp_u_f32_e64 s[36:37], v9, v9                           // 0000000027C8: D0480024 00021309
	v_bfe_u32 v29, v9, 16, 1                                   // 0000000027D0: D1C8001D 02052109
	v_add3_u32 v29, v9, v29, v32                               // 0000000027D8: D1FF001D 04823B09
	v_cndmask_b32_e64 v27, v29, v31, s[36:37]                  // 0000000027E0: D100001B 00923F1D
	v_and_or_b32 v20, v27, v30, v26                            // 0000000027E8: D2010014 046A3D1B
	v_cmp_u_f32_e64 s[36:37], v10, v10                         // 0000000027F0: D0480024 0002150A
	v_bfe_u32 v29, v10, 16, 1                                  // 0000000027F8: D1C8001D 0205210A
	v_add3_u32 v29, v10, v29, v32                              // 000000002800: D1FF001D 04823B0A
	v_cndmask_b32_e64 v26, v29, v31, s[36:37]                  // 000000002808: D100001A 00923F1D
	v_lshrrev_b32_e32 v26, 16, v26                             // 000000002810: 20343490
	v_cmp_u_f32_e64 s[36:37], v11, v11                         // 000000002814: D0480024 0002170B
	v_bfe_u32 v29, v11, 16, 1                                  // 00000000281C: D1C8001D 0205210B
	v_add3_u32 v29, v11, v29, v32                              // 000000002824: D1FF001D 04823B0B
	v_cndmask_b32_e64 v27, v29, v31, s[36:37]                  // 00000000282C: D100001B 00923F1D
	v_and_or_b32 v21, v27, v30, v26                            // 000000002834: D2010015 046A3D1B
	s_nop 1                                                    // 00000000283C: BF800001
	s_mul_i32 s25, s24, 0x100                                  // 000000002840: 9219FF18 00000100
	s_lshl_b32 s25, s25, 2                                     // 000000002848: 8E198219
	v_mov_b32_e32 v26, v0                                      // 00000000284C: 7E340300
	v_lshlrev_b32_e32 v26, 2, v26                              // 000000002850: 24343482
	v_add_u32_e64 v26, v26, s25                                // 000000002854: D134001A 0000331A
	v_add_u32_e32 v27, 0x100, v26                              // 00000000285C: 683634FF 00000100
	ds_write_b32 v26, v20                                      // 000000002864: D81A0000 0000141A
	ds_write_b32 v27, v21                                      // 00000000286C: D81A0000 0000151B
	s_barrier                                                  // 000000002874: BF8A0000
	v_lshrrev_b32_e32 v26, 4, v0                               // 000000002878: 20340084
	v_and_b32_e64 v27, v26, 1                                  // 00000000287C: D113001B 0001031A
	v_lshrrev_b32_e32 v28, 1, v26                              // 000000002884: 20383481
	v_lshlrev_b32_e32 v26, 1, v27                              // 000000002888: 24343681
	v_add_u32_e32 v26, v26, v28                                // 00000000288C: 6834391A
	v_lshlrev_b32_e32 v26, 7, v26                              // 000000002890: 24343487
	v_and_b32_e64 v27, v0, 15                                  // 000000002894: D113001B 00011F00
	v_lshlrev_b32_e32 v27, 2, v27                              // 00000000289C: 24363682
	v_add_u32_e32 v26, v27, v26                                // 0000000028A0: 6834351B
	v_add_u32_e64 v26, v26, s25                                // 0000000028A4: D134001A 0000331A
	v_add_u32_e32 v27, 64, v26                                 // 0000000028AC: 683634C0
	ds_read_b32 v20, v26                                       // 0000000028B0: D86C0000 1400001A
	ds_read_b32 v21, v27                                       // 0000000028B8: D86C0000 1500001B
	s_barrier                                                  // 0000000028C0: BF8A0000
	s_nop 1                                                    // 0000000028C4: BF800001
	s_mul_i32 s25, s11, 1                                      // 0000000028C8: 9219810B
	s_lshl_b32 s25, s25, 2                                     // 0000000028CC: 8E198219
	s_lshl_b32 s26, 0, 7                                       // 0000000028D0: 8E1A8780
	v_add_u32_e32 v7, s25, v6                                  // 0000000028D4: 680E0C19
	v_add_u32_e32 v7, s26, v7                                  // 0000000028D8: 680E0E1A
	buffer_store_dword v20, v7, s[16:19], 0 offen              // 0000000028DC: E0701000 80041407
	v_add_u32_e32 v7, s11, v7                                  // 0000000028E4: 680E0E0B
	buffer_store_dword v21, v7, s[16:19], 0 offen              // 0000000028E8: E0701000 80041507
	buffer_load_dwordx4 v[12:15], v5, s[12:15], 0 offen        // 0000000028F0: E05C1000 80030C05
	v_add_u32_e32 v5, 0x100, v5                                // 0000000028F8: 680A0AFF 00000100
	s_waitcnt vmcnt(0) expcnt(0) lgkmcnt(0)                    // 000000002900: BF8C0000
	s_barrier                                                  // 000000002904: BF8A0000
	v_cmp_u_f32_e64 s[36:37], v12, v12                         // 000000002908: D0480024 0002190C
	v_bfe_u32 v29, v12, 16, 1                                  // 000000002910: D1C8001D 0205210C
	v_add3_u32 v29, v12, v29, v32                              // 000000002918: D1FF001D 04823B0C
	v_cndmask_b32_e64 v26, v29, v31, s[36:37]                  // 000000002920: D100001A 00923F1D
	v_lshrrev_b32_e32 v26, 16, v26                             // 000000002928: 20343490
	v_cmp_u_f32_e64 s[36:37], v13, v13                         // 00000000292C: D0480024 00021B0D
	v_bfe_u32 v29, v13, 16, 1                                  // 000000002934: D1C8001D 0205210D
	v_add3_u32 v29, v13, v29, v32                              // 00000000293C: D1FF001D 04823B0D
	v_cndmask_b32_e64 v27, v29, v31, s[36:37]                  // 000000002944: D100001B 00923F1D
	v_and_or_b32 v22, v27, v30, v26                            // 00000000294C: D2010016 046A3D1B
	v_cmp_u_f32_e64 s[36:37], v14, v14                         // 000000002954: D0480024 00021D0E
	v_bfe_u32 v29, v14, 16, 1                                  // 00000000295C: D1C8001D 0205210E
	v_add3_u32 v29, v14, v29, v32                              // 000000002964: D1FF001D 04823B0E
	v_cndmask_b32_e64 v26, v29, v31, s[36:37]                  // 00000000296C: D100001A 00923F1D
	v_lshrrev_b32_e32 v26, 16, v26                             // 000000002974: 20343490
	v_cmp_u_f32_e64 s[36:37], v15, v15                         // 000000002978: D0480024 00021F0F
	v_bfe_u32 v29, v15, 16, 1                                  // 000000002980: D1C8001D 0205210F
	v_add3_u32 v29, v15, v29, v32                              // 000000002988: D1FF001D 04823B0F
	v_cndmask_b32_e64 v27, v29, v31, s[36:37]                  // 000000002990: D100001B 00923F1D
	v_and_or_b32 v23, v27, v30, v26                            // 000000002998: D2010017 046A3D1B
	s_nop 1                                                    // 0000000029A0: BF800001
	s_mul_i32 s25, s24, 0x100                                  // 0000000029A4: 9219FF18 00000100
	s_lshl_b32 s25, s25, 2                                     // 0000000029AC: 8E198219
	v_mov_b32_e32 v26, v0                                      // 0000000029B0: 7E340300
	v_lshlrev_b32_e32 v26, 2, v26                              // 0000000029B4: 24343482
	v_add_u32_e64 v26, v26, s25                                // 0000000029B8: D134001A 0000331A
	v_add_u32_e32 v27, 0x100, v26                              // 0000000029C0: 683634FF 00000100
	ds_write_b32 v26, v22                                      // 0000000029C8: D81A0000 0000161A
	ds_write_b32 v27, v23                                      // 0000000029D0: D81A0000 0000171B
	s_barrier                                                  // 0000000029D8: BF8A0000
	v_lshrrev_b32_e32 v26, 4, v0                               // 0000000029DC: 20340084
	v_and_b32_e64 v27, v26, 1                                  // 0000000029E0: D113001B 0001031A
	v_lshrrev_b32_e32 v28, 1, v26                              // 0000000029E8: 20383481
	v_lshlrev_b32_e32 v26, 1, v27                              // 0000000029EC: 24343681
	v_add_u32_e32 v26, v26, v28                                // 0000000029F0: 6834391A
	v_lshlrev_b32_e32 v26, 7, v26                              // 0000000029F4: 24343487
	v_and_b32_e64 v27, v0, 15                                  // 0000000029F8: D113001B 00011F00
	v_lshlrev_b32_e32 v27, 2, v27                              // 000000002A00: 24363682
	v_add_u32_e32 v26, v27, v26                                // 000000002A04: 6834351B
	v_add_u32_e64 v26, v26, s25                                // 000000002A08: D134001A 0000331A
	v_add_u32_e32 v27, 64, v26                                 // 000000002A10: 683634C0
	ds_read_b32 v22, v26                                       // 000000002A14: D86C0000 1600001A
	ds_read_b32 v23, v27                                       // 000000002A1C: D86C0000 1700001B
	s_barrier                                                  // 000000002A24: BF8A0000
	s_nop 1                                                    // 000000002A28: BF800001
	s_mul_i32 s25, s11, 1                                      // 000000002A2C: 9219810B
	s_lshl_b32 s25, s25, 2                                     // 000000002A30: 8E198219
	s_lshl_b32 s26, 1, 7                                       // 000000002A34: 8E1A8781
	v_add_u32_e32 v7, s25, v6                                  // 000000002A38: 680E0C19
	v_add_u32_e32 v7, s26, v7                                  // 000000002A3C: 680E0E1A
	buffer_store_dword v22, v7, s[16:19], 0 offen              // 000000002A40: E0701000 80041607
	v_add_u32_e32 v7, s11, v7                                  // 000000002A48: 680E0E0B
	buffer_store_dword v23, v7, s[16:19], 0 offen              // 000000002A4C: E0701000 80041707
	v_mov_b32_e32 v16, 0                                       // 000000002A54: 7E200280
	v_mov_b32_e32 v17, 0                                       // 000000002A58: 7E220280
	v_mov_b32_e32 v18, 0                                       // 000000002A5C: 7E240280
	v_mov_b32_e32 v19, 0                                       // 000000002A60: 7E260280
	s_mov_b64 exec, s[30:31]                                   // 000000002A64: BEFE011E
	buffer_load_dwordx4 v[16:19], v5, s[12:15], 0 offen        // 000000002A68: E05C1000 80031005
	s_mov_b64 exec, -1                                         // 000000002A70: BEFE01C1
	v_add_u32_e32 v5, 0x100, v5                                // 000000002A74: 680A0AFF 00000100
	s_waitcnt vmcnt(0) expcnt(0) lgkmcnt(0)                    // 000000002A7C: BF8C0000
	s_barrier                                                  // 000000002A80: BF8A0000
	v_cmp_u_f32_e64 s[36:37], v16, v16                         // 000000002A84: D0480024 00022110
	v_bfe_u32 v29, v16, 16, 1                                  // 000000002A8C: D1C8001D 02052110
	v_add3_u32 v29, v16, v29, v32                              // 000000002A94: D1FF001D 04823B10
	v_cndmask_b32_e64 v26, v29, v31, s[36:37]                  // 000000002A9C: D100001A 00923F1D
	v_lshrrev_b32_e32 v26, 16, v26                             // 000000002AA4: 20343490
	v_cmp_u_f32_e64 s[36:37], v17, v17                         // 000000002AA8: D0480024 00022311
	v_bfe_u32 v29, v17, 16, 1                                  // 000000002AB0: D1C8001D 02052111
	v_add3_u32 v29, v17, v29, v32                              // 000000002AB8: D1FF001D 04823B11
	v_cndmask_b32_e64 v27, v29, v31, s[36:37]                  // 000000002AC0: D100001B 00923F1D
	v_and_or_b32 v24, v27, v30, v26                            // 000000002AC8: D2010018 046A3D1B
	v_cmp_u_f32_e64 s[36:37], v18, v18                         // 000000002AD0: D0480024 00022512
	v_bfe_u32 v29, v18, 16, 1                                  // 000000002AD8: D1C8001D 02052112
	v_add3_u32 v29, v18, v29, v32                              // 000000002AE0: D1FF001D 04823B12
	v_cndmask_b32_e64 v26, v29, v31, s[36:37]                  // 000000002AE8: D100001A 00923F1D
	v_lshrrev_b32_e32 v26, 16, v26                             // 000000002AF0: 20343490
	v_cmp_u_f32_e64 s[36:37], v19, v19                         // 000000002AF4: D0480024 00022713
	v_bfe_u32 v29, v19, 16, 1                                  // 000000002AFC: D1C8001D 02052113
	v_add3_u32 v29, v19, v29, v32                              // 000000002B04: D1FF001D 04823B13
	v_cndmask_b32_e64 v27, v29, v31, s[36:37]                  // 000000002B0C: D100001B 00923F1D
	v_and_or_b32 v25, v27, v30, v26                            // 000000002B14: D2010019 046A3D1B
	s_nop 1                                                    // 000000002B1C: BF800001
	s_mul_i32 s25, s24, 0x100                                  // 000000002B20: 9219FF18 00000100
	s_lshl_b32 s25, s25, 2                                     // 000000002B28: 8E198219
	v_mov_b32_e32 v26, v0                                      // 000000002B2C: 7E340300
	v_lshlrev_b32_e32 v26, 2, v26                              // 000000002B30: 24343482
	v_add_u32_e64 v26, v26, s25                                // 000000002B34: D134001A 0000331A
	v_add_u32_e32 v27, 0x100, v26                              // 000000002B3C: 683634FF 00000100
	ds_write_b32 v26, v24                                      // 000000002B44: D81A0000 0000181A
	ds_write_b32 v27, v25                                      // 000000002B4C: D81A0000 0000191B
	s_barrier                                                  // 000000002B54: BF8A0000
	v_lshrrev_b32_e32 v26, 4, v0                               // 000000002B58: 20340084
	v_and_b32_e64 v27, v26, 1                                  // 000000002B5C: D113001B 0001031A
	v_lshrrev_b32_e32 v28, 1, v26                              // 000000002B64: 20383481
	v_lshlrev_b32_e32 v26, 1, v27                              // 000000002B68: 24343681
	v_add_u32_e32 v26, v26, v28                                // 000000002B6C: 6834391A
	v_lshlrev_b32_e32 v26, 7, v26                              // 000000002B70: 24343487
	v_and_b32_e64 v27, v0, 15                                  // 000000002B74: D113001B 00011F00
	v_lshlrev_b32_e32 v27, 2, v27                              // 000000002B7C: 24363682
	v_add_u32_e32 v26, v27, v26                                // 000000002B80: 6834351B
	v_add_u32_e64 v26, v26, s25                                // 000000002B84: D134001A 0000331A
	v_add_u32_e32 v27, 64, v26                                 // 000000002B8C: 683634C0
	ds_read_b32 v24, v26                                       // 000000002B90: D86C0000 1800001A
	ds_read_b32 v25, v27                                       // 000000002B98: D86C0000 1900001B
	s_barrier                                                  // 000000002BA0: BF8A0000
	s_nop 1                                                    // 000000002BA4: BF800001
	s_mul_i32 s25, s11, 1                                      // 000000002BA8: 9219810B
	s_lshl_b32 s25, s25, 2                                     // 000000002BAC: 8E198219
	s_lshl_b32 s26, 2, 7                                       // 000000002BB0: 8E1A8782
	v_add_u32_e32 v7, s25, v6                                  // 000000002BB4: 680E0C19
	v_add_u32_e32 v7, s26, v7                                  // 000000002BB8: 680E0E1A
	s_mov_b64 exec, s[32:33]                                   // 000000002BBC: BEFE0120
	buffer_store_dword v24, v7, s[16:19], 0 offen              // 000000002BC0: E0701000 80041807
	v_add_u32_e32 v7, s11, v7                                  // 000000002BC8: 680E0E0B
	buffer_store_dword v25, v7, s[16:19], 0 offen              // 000000002BCC: E0701000 80041907
	s_mov_b64 exec, -1                                         // 000000002BD4: BEFE01C1
	s_mul_i32 s25, s8, 2                                       // 000000002BD8: 92198208
	s_lshl_b32 s25, s25, 2                                     // 000000002BDC: 8E198219
	v_add_u32_e32 v5, s25, v4                                  // 000000002BE0: 680A0819
	buffer_load_dwordx4 v[8:11], v5, s[12:15], 0 offen         // 000000002BE4: E05C1000 80030805
	v_add_u32_e32 v5, 0x100, v5                                // 000000002BEC: 680A0AFF 00000100
	s_waitcnt vmcnt(0) expcnt(0) lgkmcnt(0)                    // 000000002BF4: BF8C0000
	s_barrier                                                  // 000000002BF8: BF8A0000
	v_cmp_u_f32_e64 s[36:37], v8, v8                           // 000000002BFC: D0480024 00021108
	v_bfe_u32 v29, v8, 16, 1                                   // 000000002C04: D1C8001D 02052108
	v_add3_u32 v29, v8, v29, v32                               // 000000002C0C: D1FF001D 04823B08
	v_cndmask_b32_e64 v26, v29, v31, s[36:37]                  // 000000002C14: D100001A 00923F1D
	v_lshrrev_b32_e32 v26, 16, v26                             // 000000002C1C: 20343490
	v_cmp_u_f32_e64 s[36:37], v9, v9                           // 000000002C20: D0480024 00021309
	v_bfe_u32 v29, v9, 16, 1                                   // 000000002C28: D1C8001D 02052109
	v_add3_u32 v29, v9, v29, v32                               // 000000002C30: D1FF001D 04823B09
	v_cndmask_b32_e64 v27, v29, v31, s[36:37]                  // 000000002C38: D100001B 00923F1D
	v_and_or_b32 v20, v27, v30, v26                            // 000000002C40: D2010014 046A3D1B
	v_cmp_u_f32_e64 s[36:37], v10, v10                         // 000000002C48: D0480024 0002150A
	v_bfe_u32 v29, v10, 16, 1                                  // 000000002C50: D1C8001D 0205210A
	v_add3_u32 v29, v10, v29, v32                              // 000000002C58: D1FF001D 04823B0A
	v_cndmask_b32_e64 v26, v29, v31, s[36:37]                  // 000000002C60: D100001A 00923F1D
	v_lshrrev_b32_e32 v26, 16, v26                             // 000000002C68: 20343490
	v_cmp_u_f32_e64 s[36:37], v11, v11                         // 000000002C6C: D0480024 0002170B
	v_bfe_u32 v29, v11, 16, 1                                  // 000000002C74: D1C8001D 0205210B
	v_add3_u32 v29, v11, v29, v32                              // 000000002C7C: D1FF001D 04823B0B
	v_cndmask_b32_e64 v27, v29, v31, s[36:37]                  // 000000002C84: D100001B 00923F1D
	v_and_or_b32 v21, v27, v30, v26                            // 000000002C8C: D2010015 046A3D1B
	s_nop 1                                                    // 000000002C94: BF800001
	s_mul_i32 s25, s24, 0x100                                  // 000000002C98: 9219FF18 00000100
	s_lshl_b32 s25, s25, 2                                     // 000000002CA0: 8E198219
	v_mov_b32_e32 v26, v0                                      // 000000002CA4: 7E340300
	v_lshlrev_b32_e32 v26, 2, v26                              // 000000002CA8: 24343482
	v_add_u32_e64 v26, v26, s25                                // 000000002CAC: D134001A 0000331A
	v_add_u32_e32 v27, 0x100, v26                              // 000000002CB4: 683634FF 00000100
	ds_write_b32 v26, v20                                      // 000000002CBC: D81A0000 0000141A
	ds_write_b32 v27, v21                                      // 000000002CC4: D81A0000 0000151B
	s_barrier                                                  // 000000002CCC: BF8A0000
	v_lshrrev_b32_e32 v26, 4, v0                               // 000000002CD0: 20340084
	v_and_b32_e64 v27, v26, 1                                  // 000000002CD4: D113001B 0001031A
	v_lshrrev_b32_e32 v28, 1, v26                              // 000000002CDC: 20383481
	v_lshlrev_b32_e32 v26, 1, v27                              // 000000002CE0: 24343681
	v_add_u32_e32 v26, v26, v28                                // 000000002CE4: 6834391A
	v_lshlrev_b32_e32 v26, 7, v26                              // 000000002CE8: 24343487
	v_and_b32_e64 v27, v0, 15                                  // 000000002CEC: D113001B 00011F00
	v_lshlrev_b32_e32 v27, 2, v27                              // 000000002CF4: 24363682
	v_add_u32_e32 v26, v27, v26                                // 000000002CF8: 6834351B
	v_add_u32_e64 v26, v26, s25                                // 000000002CFC: D134001A 0000331A
	v_add_u32_e32 v27, 64, v26                                 // 000000002D04: 683634C0
	ds_read_b32 v20, v26                                       // 000000002D08: D86C0000 1400001A
	ds_read_b32 v21, v27                                       // 000000002D10: D86C0000 1500001B
	s_barrier                                                  // 000000002D18: BF8A0000
	s_nop 1                                                    // 000000002D1C: BF800001
	s_mul_i32 s25, s11, 2                                      // 000000002D20: 9219820B
	s_lshl_b32 s25, s25, 2                                     // 000000002D24: 8E198219
	s_lshl_b32 s26, 0, 7                                       // 000000002D28: 8E1A8780
	v_add_u32_e32 v7, s25, v6                                  // 000000002D2C: 680E0C19
	v_add_u32_e32 v7, s26, v7                                  // 000000002D30: 680E0E1A
	buffer_store_dword v20, v7, s[16:19], 0 offen              // 000000002D34: E0701000 80041407
	v_add_u32_e32 v7, s11, v7                                  // 000000002D3C: 680E0E0B
	buffer_store_dword v21, v7, s[16:19], 0 offen              // 000000002D40: E0701000 80041507
	buffer_load_dwordx4 v[12:15], v5, s[12:15], 0 offen        // 000000002D48: E05C1000 80030C05
	v_add_u32_e32 v5, 0x100, v5                                // 000000002D50: 680A0AFF 00000100
	s_waitcnt vmcnt(0) expcnt(0) lgkmcnt(0)                    // 000000002D58: BF8C0000
	s_barrier                                                  // 000000002D5C: BF8A0000
	v_cmp_u_f32_e64 s[36:37], v12, v12                         // 000000002D60: D0480024 0002190C
	v_bfe_u32 v29, v12, 16, 1                                  // 000000002D68: D1C8001D 0205210C
	v_add3_u32 v29, v12, v29, v32                              // 000000002D70: D1FF001D 04823B0C
	v_cndmask_b32_e64 v26, v29, v31, s[36:37]                  // 000000002D78: D100001A 00923F1D
	v_lshrrev_b32_e32 v26, 16, v26                             // 000000002D80: 20343490
	v_cmp_u_f32_e64 s[36:37], v13, v13                         // 000000002D84: D0480024 00021B0D
	v_bfe_u32 v29, v13, 16, 1                                  // 000000002D8C: D1C8001D 0205210D
	v_add3_u32 v29, v13, v29, v32                              // 000000002D94: D1FF001D 04823B0D
	v_cndmask_b32_e64 v27, v29, v31, s[36:37]                  // 000000002D9C: D100001B 00923F1D
	v_and_or_b32 v22, v27, v30, v26                            // 000000002DA4: D2010016 046A3D1B
	v_cmp_u_f32_e64 s[36:37], v14, v14                         // 000000002DAC: D0480024 00021D0E
	v_bfe_u32 v29, v14, 16, 1                                  // 000000002DB4: D1C8001D 0205210E
	v_add3_u32 v29, v14, v29, v32                              // 000000002DBC: D1FF001D 04823B0E
	v_cndmask_b32_e64 v26, v29, v31, s[36:37]                  // 000000002DC4: D100001A 00923F1D
	v_lshrrev_b32_e32 v26, 16, v26                             // 000000002DCC: 20343490
	v_cmp_u_f32_e64 s[36:37], v15, v15                         // 000000002DD0: D0480024 00021F0F
	v_bfe_u32 v29, v15, 16, 1                                  // 000000002DD8: D1C8001D 0205210F
	v_add3_u32 v29, v15, v29, v32                              // 000000002DE0: D1FF001D 04823B0F
	v_cndmask_b32_e64 v27, v29, v31, s[36:37]                  // 000000002DE8: D100001B 00923F1D
	v_and_or_b32 v23, v27, v30, v26                            // 000000002DF0: D2010017 046A3D1B
	s_nop 1                                                    // 000000002DF8: BF800001
	s_mul_i32 s25, s24, 0x100                                  // 000000002DFC: 9219FF18 00000100
	s_lshl_b32 s25, s25, 2                                     // 000000002E04: 8E198219
	v_mov_b32_e32 v26, v0                                      // 000000002E08: 7E340300
	v_lshlrev_b32_e32 v26, 2, v26                              // 000000002E0C: 24343482
	v_add_u32_e64 v26, v26, s25                                // 000000002E10: D134001A 0000331A
	v_add_u32_e32 v27, 0x100, v26                              // 000000002E18: 683634FF 00000100
	ds_write_b32 v26, v22                                      // 000000002E20: D81A0000 0000161A
	ds_write_b32 v27, v23                                      // 000000002E28: D81A0000 0000171B
	s_barrier                                                  // 000000002E30: BF8A0000
	v_lshrrev_b32_e32 v26, 4, v0                               // 000000002E34: 20340084
	v_and_b32_e64 v27, v26, 1                                  // 000000002E38: D113001B 0001031A
	v_lshrrev_b32_e32 v28, 1, v26                              // 000000002E40: 20383481
	v_lshlrev_b32_e32 v26, 1, v27                              // 000000002E44: 24343681
	v_add_u32_e32 v26, v26, v28                                // 000000002E48: 6834391A
	v_lshlrev_b32_e32 v26, 7, v26                              // 000000002E4C: 24343487
	v_and_b32_e64 v27, v0, 15                                  // 000000002E50: D113001B 00011F00
	v_lshlrev_b32_e32 v27, 2, v27                              // 000000002E58: 24363682
	v_add_u32_e32 v26, v27, v26                                // 000000002E5C: 6834351B
	v_add_u32_e64 v26, v26, s25                                // 000000002E60: D134001A 0000331A
	v_add_u32_e32 v27, 64, v26                                 // 000000002E68: 683634C0
	ds_read_b32 v22, v26                                       // 000000002E6C: D86C0000 1600001A
	ds_read_b32 v23, v27                                       // 000000002E74: D86C0000 1700001B
	s_barrier                                                  // 000000002E7C: BF8A0000
	s_nop 1                                                    // 000000002E80: BF800001
	s_mul_i32 s25, s11, 2                                      // 000000002E84: 9219820B
	s_lshl_b32 s25, s25, 2                                     // 000000002E88: 8E198219
	s_lshl_b32 s26, 1, 7                                       // 000000002E8C: 8E1A8781
	v_add_u32_e32 v7, s25, v6                                  // 000000002E90: 680E0C19
	v_add_u32_e32 v7, s26, v7                                  // 000000002E94: 680E0E1A
	buffer_store_dword v22, v7, s[16:19], 0 offen              // 000000002E98: E0701000 80041607
	v_add_u32_e32 v7, s11, v7                                  // 000000002EA0: 680E0E0B
	buffer_store_dword v23, v7, s[16:19], 0 offen              // 000000002EA4: E0701000 80041707
	v_mov_b32_e32 v16, 0                                       // 000000002EAC: 7E200280
	v_mov_b32_e32 v17, 0                                       // 000000002EB0: 7E220280
	v_mov_b32_e32 v18, 0                                       // 000000002EB4: 7E240280
	v_mov_b32_e32 v19, 0                                       // 000000002EB8: 7E260280
	s_mov_b64 exec, s[30:31]                                   // 000000002EBC: BEFE011E
	buffer_load_dwordx4 v[16:19], v5, s[12:15], 0 offen        // 000000002EC0: E05C1000 80031005
	s_mov_b64 exec, -1                                         // 000000002EC8: BEFE01C1
	v_add_u32_e32 v5, 0x100, v5                                // 000000002ECC: 680A0AFF 00000100
	s_waitcnt vmcnt(0) expcnt(0) lgkmcnt(0)                    // 000000002ED4: BF8C0000
	s_barrier                                                  // 000000002ED8: BF8A0000
	v_cmp_u_f32_e64 s[36:37], v16, v16                         // 000000002EDC: D0480024 00022110
	v_bfe_u32 v29, v16, 16, 1                                  // 000000002EE4: D1C8001D 02052110
	v_add3_u32 v29, v16, v29, v32                              // 000000002EEC: D1FF001D 04823B10
	v_cndmask_b32_e64 v26, v29, v31, s[36:37]                  // 000000002EF4: D100001A 00923F1D
	v_lshrrev_b32_e32 v26, 16, v26                             // 000000002EFC: 20343490
	v_cmp_u_f32_e64 s[36:37], v17, v17                         // 000000002F00: D0480024 00022311
	v_bfe_u32 v29, v17, 16, 1                                  // 000000002F08: D1C8001D 02052111
	v_add3_u32 v29, v17, v29, v32                              // 000000002F10: D1FF001D 04823B11
	v_cndmask_b32_e64 v27, v29, v31, s[36:37]                  // 000000002F18: D100001B 00923F1D
	v_and_or_b32 v24, v27, v30, v26                            // 000000002F20: D2010018 046A3D1B
	v_cmp_u_f32_e64 s[36:37], v18, v18                         // 000000002F28: D0480024 00022512
	v_bfe_u32 v29, v18, 16, 1                                  // 000000002F30: D1C8001D 02052112
	v_add3_u32 v29, v18, v29, v32                              // 000000002F38: D1FF001D 04823B12
	v_cndmask_b32_e64 v26, v29, v31, s[36:37]                  // 000000002F40: D100001A 00923F1D
	v_lshrrev_b32_e32 v26, 16, v26                             // 000000002F48: 20343490
	v_cmp_u_f32_e64 s[36:37], v19, v19                         // 000000002F4C: D0480024 00022713
	v_bfe_u32 v29, v19, 16, 1                                  // 000000002F54: D1C8001D 02052113
	v_add3_u32 v29, v19, v29, v32                              // 000000002F5C: D1FF001D 04823B13
	v_cndmask_b32_e64 v27, v29, v31, s[36:37]                  // 000000002F64: D100001B 00923F1D
	v_and_or_b32 v25, v27, v30, v26                            // 000000002F6C: D2010019 046A3D1B
	s_nop 1                                                    // 000000002F74: BF800001
	s_mul_i32 s25, s24, 0x100                                  // 000000002F78: 9219FF18 00000100
	s_lshl_b32 s25, s25, 2                                     // 000000002F80: 8E198219
	v_mov_b32_e32 v26, v0                                      // 000000002F84: 7E340300
	v_lshlrev_b32_e32 v26, 2, v26                              // 000000002F88: 24343482
	v_add_u32_e64 v26, v26, s25                                // 000000002F8C: D134001A 0000331A
	v_add_u32_e32 v27, 0x100, v26                              // 000000002F94: 683634FF 00000100
	ds_write_b32 v26, v24                                      // 000000002F9C: D81A0000 0000181A
	ds_write_b32 v27, v25                                      // 000000002FA4: D81A0000 0000191B
	s_barrier                                                  // 000000002FAC: BF8A0000
	v_lshrrev_b32_e32 v26, 4, v0                               // 000000002FB0: 20340084
	v_and_b32_e64 v27, v26, 1                                  // 000000002FB4: D113001B 0001031A
	v_lshrrev_b32_e32 v28, 1, v26                              // 000000002FBC: 20383481
	v_lshlrev_b32_e32 v26, 1, v27                              // 000000002FC0: 24343681
	v_add_u32_e32 v26, v26, v28                                // 000000002FC4: 6834391A
	v_lshlrev_b32_e32 v26, 7, v26                              // 000000002FC8: 24343487
	v_and_b32_e64 v27, v0, 15                                  // 000000002FCC: D113001B 00011F00
	v_lshlrev_b32_e32 v27, 2, v27                              // 000000002FD4: 24363682
	v_add_u32_e32 v26, v27, v26                                // 000000002FD8: 6834351B
	v_add_u32_e64 v26, v26, s25                                // 000000002FDC: D134001A 0000331A
	v_add_u32_e32 v27, 64, v26                                 // 000000002FE4: 683634C0
	ds_read_b32 v24, v26                                       // 000000002FE8: D86C0000 1800001A
	ds_read_b32 v25, v27                                       // 000000002FF0: D86C0000 1900001B
	s_barrier                                                  // 000000002FF8: BF8A0000
	s_nop 1                                                    // 000000002FFC: BF800001
	s_mul_i32 s25, s11, 2                                      // 000000003000: 9219820B
	s_lshl_b32 s25, s25, 2                                     // 000000003004: 8E198219
	s_lshl_b32 s26, 2, 7                                       // 000000003008: 8E1A8782
	v_add_u32_e32 v7, s25, v6                                  // 00000000300C: 680E0C19
	v_add_u32_e32 v7, s26, v7                                  // 000000003010: 680E0E1A
	s_mov_b64 exec, s[32:33]                                   // 000000003014: BEFE0120
	buffer_store_dword v24, v7, s[16:19], 0 offen              // 000000003018: E0701000 80041807
	v_add_u32_e32 v7, s11, v7                                  // 000000003020: 680E0E0B
	buffer_store_dword v25, v7, s[16:19], 0 offen              // 000000003024: E0701000 80041907
	s_mov_b64 exec, -1                                         // 00000000302C: BEFE01C1
	s_mul_i32 s25, s8, 3                                       // 000000003030: 92198308
	s_lshl_b32 s25, s25, 2                                     // 000000003034: 8E198219
	v_add_u32_e32 v5, s25, v4                                  // 000000003038: 680A0819
	buffer_load_dwordx4 v[8:11], v5, s[12:15], 0 offen         // 00000000303C: E05C1000 80030805
	v_add_u32_e32 v5, 0x100, v5                                // 000000003044: 680A0AFF 00000100
	s_waitcnt vmcnt(0) expcnt(0) lgkmcnt(0)                    // 00000000304C: BF8C0000
	s_barrier                                                  // 000000003050: BF8A0000
	v_cmp_u_f32_e64 s[36:37], v8, v8                           // 000000003054: D0480024 00021108
	v_bfe_u32 v29, v8, 16, 1                                   // 00000000305C: D1C8001D 02052108
	v_add3_u32 v29, v8, v29, v32                               // 000000003064: D1FF001D 04823B08
	v_cndmask_b32_e64 v26, v29, v31, s[36:37]                  // 00000000306C: D100001A 00923F1D
	v_lshrrev_b32_e32 v26, 16, v26                             // 000000003074: 20343490
	v_cmp_u_f32_e64 s[36:37], v9, v9                           // 000000003078: D0480024 00021309
	v_bfe_u32 v29, v9, 16, 1                                   // 000000003080: D1C8001D 02052109
	v_add3_u32 v29, v9, v29, v32                               // 000000003088: D1FF001D 04823B09
	v_cndmask_b32_e64 v27, v29, v31, s[36:37]                  // 000000003090: D100001B 00923F1D
	v_and_or_b32 v20, v27, v30, v26                            // 000000003098: D2010014 046A3D1B
	v_cmp_u_f32_e64 s[36:37], v10, v10                         // 0000000030A0: D0480024 0002150A
	v_bfe_u32 v29, v10, 16, 1                                  // 0000000030A8: D1C8001D 0205210A
	v_add3_u32 v29, v10, v29, v32                              // 0000000030B0: D1FF001D 04823B0A
	v_cndmask_b32_e64 v26, v29, v31, s[36:37]                  // 0000000030B8: D100001A 00923F1D
	v_lshrrev_b32_e32 v26, 16, v26                             // 0000000030C0: 20343490
	v_cmp_u_f32_e64 s[36:37], v11, v11                         // 0000000030C4: D0480024 0002170B
	v_bfe_u32 v29, v11, 16, 1                                  // 0000000030CC: D1C8001D 0205210B
	v_add3_u32 v29, v11, v29, v32                              // 0000000030D4: D1FF001D 04823B0B
	v_cndmask_b32_e64 v27, v29, v31, s[36:37]                  // 0000000030DC: D100001B 00923F1D
	v_and_or_b32 v21, v27, v30, v26                            // 0000000030E4: D2010015 046A3D1B
	s_nop 1                                                    // 0000000030EC: BF800001
	s_mul_i32 s25, s24, 0x100                                  // 0000000030F0: 9219FF18 00000100
	s_lshl_b32 s25, s25, 2                                     // 0000000030F8: 8E198219
	v_mov_b32_e32 v26, v0                                      // 0000000030FC: 7E340300
	v_lshlrev_b32_e32 v26, 2, v26                              // 000000003100: 24343482
	v_add_u32_e64 v26, v26, s25                                // 000000003104: D134001A 0000331A
	v_add_u32_e32 v27, 0x100, v26                              // 00000000310C: 683634FF 00000100
	ds_write_b32 v26, v20                                      // 000000003114: D81A0000 0000141A
	ds_write_b32 v27, v21                                      // 00000000311C: D81A0000 0000151B
	s_barrier                                                  // 000000003124: BF8A0000
	v_lshrrev_b32_e32 v26, 4, v0                               // 000000003128: 20340084
	v_and_b32_e64 v27, v26, 1                                  // 00000000312C: D113001B 0001031A
	v_lshrrev_b32_e32 v28, 1, v26                              // 000000003134: 20383481
	v_lshlrev_b32_e32 v26, 1, v27                              // 000000003138: 24343681
	v_add_u32_e32 v26, v26, v28                                // 00000000313C: 6834391A
	v_lshlrev_b32_e32 v26, 7, v26                              // 000000003140: 24343487
	v_and_b32_e64 v27, v0, 15                                  // 000000003144: D113001B 00011F00
	v_lshlrev_b32_e32 v27, 2, v27                              // 00000000314C: 24363682
	v_add_u32_e32 v26, v27, v26                                // 000000003150: 6834351B
	v_add_u32_e64 v26, v26, s25                                // 000000003154: D134001A 0000331A
	v_add_u32_e32 v27, 64, v26                                 // 00000000315C: 683634C0
	ds_read_b32 v20, v26                                       // 000000003160: D86C0000 1400001A
	ds_read_b32 v21, v27                                       // 000000003168: D86C0000 1500001B
	s_barrier                                                  // 000000003170: BF8A0000
	s_nop 1                                                    // 000000003174: BF800001
	s_mul_i32 s25, s11, 3                                      // 000000003178: 9219830B
	s_lshl_b32 s25, s25, 2                                     // 00000000317C: 8E198219
	s_lshl_b32 s26, 0, 7                                       // 000000003180: 8E1A8780
	v_add_u32_e32 v7, s25, v6                                  // 000000003184: 680E0C19
	v_add_u32_e32 v7, s26, v7                                  // 000000003188: 680E0E1A
	buffer_store_dword v20, v7, s[16:19], 0 offen              // 00000000318C: E0701000 80041407
	v_add_u32_e32 v7, s11, v7                                  // 000000003194: 680E0E0B
	buffer_store_dword v21, v7, s[16:19], 0 offen              // 000000003198: E0701000 80041507
	buffer_load_dwordx4 v[12:15], v5, s[12:15], 0 offen        // 0000000031A0: E05C1000 80030C05
	v_add_u32_e32 v5, 0x100, v5                                // 0000000031A8: 680A0AFF 00000100
	s_waitcnt vmcnt(0) expcnt(0) lgkmcnt(0)                    // 0000000031B0: BF8C0000
	s_barrier                                                  // 0000000031B4: BF8A0000
	v_cmp_u_f32_e64 s[36:37], v12, v12                         // 0000000031B8: D0480024 0002190C
	v_bfe_u32 v29, v12, 16, 1                                  // 0000000031C0: D1C8001D 0205210C
	v_add3_u32 v29, v12, v29, v32                              // 0000000031C8: D1FF001D 04823B0C
	v_cndmask_b32_e64 v26, v29, v31, s[36:37]                  // 0000000031D0: D100001A 00923F1D
	v_lshrrev_b32_e32 v26, 16, v26                             // 0000000031D8: 20343490
	v_cmp_u_f32_e64 s[36:37], v13, v13                         // 0000000031DC: D0480024 00021B0D
	v_bfe_u32 v29, v13, 16, 1                                  // 0000000031E4: D1C8001D 0205210D
	v_add3_u32 v29, v13, v29, v32                              // 0000000031EC: D1FF001D 04823B0D
	v_cndmask_b32_e64 v27, v29, v31, s[36:37]                  // 0000000031F4: D100001B 00923F1D
	v_and_or_b32 v22, v27, v30, v26                            // 0000000031FC: D2010016 046A3D1B
	v_cmp_u_f32_e64 s[36:37], v14, v14                         // 000000003204: D0480024 00021D0E
	v_bfe_u32 v29, v14, 16, 1                                  // 00000000320C: D1C8001D 0205210E
	v_add3_u32 v29, v14, v29, v32                              // 000000003214: D1FF001D 04823B0E
	v_cndmask_b32_e64 v26, v29, v31, s[36:37]                  // 00000000321C: D100001A 00923F1D
	v_lshrrev_b32_e32 v26, 16, v26                             // 000000003224: 20343490
	v_cmp_u_f32_e64 s[36:37], v15, v15                         // 000000003228: D0480024 00021F0F
	v_bfe_u32 v29, v15, 16, 1                                  // 000000003230: D1C8001D 0205210F
	v_add3_u32 v29, v15, v29, v32                              // 000000003238: D1FF001D 04823B0F
	v_cndmask_b32_e64 v27, v29, v31, s[36:37]                  // 000000003240: D100001B 00923F1D
	v_and_or_b32 v23, v27, v30, v26                            // 000000003248: D2010017 046A3D1B
	s_nop 1                                                    // 000000003250: BF800001
	s_mul_i32 s25, s24, 0x100                                  // 000000003254: 9219FF18 00000100
	s_lshl_b32 s25, s25, 2                                     // 00000000325C: 8E198219
	v_mov_b32_e32 v26, v0                                      // 000000003260: 7E340300
	v_lshlrev_b32_e32 v26, 2, v26                              // 000000003264: 24343482
	v_add_u32_e64 v26, v26, s25                                // 000000003268: D134001A 0000331A
	v_add_u32_e32 v27, 0x100, v26                              // 000000003270: 683634FF 00000100
	ds_write_b32 v26, v22                                      // 000000003278: D81A0000 0000161A
	ds_write_b32 v27, v23                                      // 000000003280: D81A0000 0000171B
	s_barrier                                                  // 000000003288: BF8A0000
	v_lshrrev_b32_e32 v26, 4, v0                               // 00000000328C: 20340084
	v_and_b32_e64 v27, v26, 1                                  // 000000003290: D113001B 0001031A
	v_lshrrev_b32_e32 v28, 1, v26                              // 000000003298: 20383481
	v_lshlrev_b32_e32 v26, 1, v27                              // 00000000329C: 24343681
	v_add_u32_e32 v26, v26, v28                                // 0000000032A0: 6834391A
	v_lshlrev_b32_e32 v26, 7, v26                              // 0000000032A4: 24343487
	v_and_b32_e64 v27, v0, 15                                  // 0000000032A8: D113001B 00011F00
	v_lshlrev_b32_e32 v27, 2, v27                              // 0000000032B0: 24363682
	v_add_u32_e32 v26, v27, v26                                // 0000000032B4: 6834351B
	v_add_u32_e64 v26, v26, s25                                // 0000000032B8: D134001A 0000331A
	v_add_u32_e32 v27, 64, v26                                 // 0000000032C0: 683634C0
	ds_read_b32 v22, v26                                       // 0000000032C4: D86C0000 1600001A
	ds_read_b32 v23, v27                                       // 0000000032CC: D86C0000 1700001B
	s_barrier                                                  // 0000000032D4: BF8A0000
	s_nop 1                                                    // 0000000032D8: BF800001
	s_mul_i32 s25, s11, 3                                      // 0000000032DC: 9219830B
	s_lshl_b32 s25, s25, 2                                     // 0000000032E0: 8E198219
	s_lshl_b32 s26, 1, 7                                       // 0000000032E4: 8E1A8781
	v_add_u32_e32 v7, s25, v6                                  // 0000000032E8: 680E0C19
	v_add_u32_e32 v7, s26, v7                                  // 0000000032EC: 680E0E1A
	buffer_store_dword v22, v7, s[16:19], 0 offen              // 0000000032F0: E0701000 80041607
	v_add_u32_e32 v7, s11, v7                                  // 0000000032F8: 680E0E0B
	buffer_store_dword v23, v7, s[16:19], 0 offen              // 0000000032FC: E0701000 80041707
	v_mov_b32_e32 v16, 0                                       // 000000003304: 7E200280
	v_mov_b32_e32 v17, 0                                       // 000000003308: 7E220280
	v_mov_b32_e32 v18, 0                                       // 00000000330C: 7E240280
	v_mov_b32_e32 v19, 0                                       // 000000003310: 7E260280
	s_mov_b64 exec, s[30:31]                                   // 000000003314: BEFE011E
	buffer_load_dwordx4 v[16:19], v5, s[12:15], 0 offen        // 000000003318: E05C1000 80031005
	s_mov_b64 exec, -1                                         // 000000003320: BEFE01C1
	v_add_u32_e32 v5, 0x100, v5                                // 000000003324: 680A0AFF 00000100
	s_waitcnt vmcnt(0) expcnt(0) lgkmcnt(0)                    // 00000000332C: BF8C0000
	s_barrier                                                  // 000000003330: BF8A0000
	v_cmp_u_f32_e64 s[36:37], v16, v16                         // 000000003334: D0480024 00022110
	v_bfe_u32 v29, v16, 16, 1                                  // 00000000333C: D1C8001D 02052110
	v_add3_u32 v29, v16, v29, v32                              // 000000003344: D1FF001D 04823B10
	v_cndmask_b32_e64 v26, v29, v31, s[36:37]                  // 00000000334C: D100001A 00923F1D
	v_lshrrev_b32_e32 v26, 16, v26                             // 000000003354: 20343490
	v_cmp_u_f32_e64 s[36:37], v17, v17                         // 000000003358: D0480024 00022311
	v_bfe_u32 v29, v17, 16, 1                                  // 000000003360: D1C8001D 02052111
	v_add3_u32 v29, v17, v29, v32                              // 000000003368: D1FF001D 04823B11
	v_cndmask_b32_e64 v27, v29, v31, s[36:37]                  // 000000003370: D100001B 00923F1D
	v_and_or_b32 v24, v27, v30, v26                            // 000000003378: D2010018 046A3D1B
	v_cmp_u_f32_e64 s[36:37], v18, v18                         // 000000003380: D0480024 00022512
	v_bfe_u32 v29, v18, 16, 1                                  // 000000003388: D1C8001D 02052112
	v_add3_u32 v29, v18, v29, v32                              // 000000003390: D1FF001D 04823B12
	v_cndmask_b32_e64 v26, v29, v31, s[36:37]                  // 000000003398: D100001A 00923F1D
	v_lshrrev_b32_e32 v26, 16, v26                             // 0000000033A0: 20343490
	v_cmp_u_f32_e64 s[36:37], v19, v19                         // 0000000033A4: D0480024 00022713
	v_bfe_u32 v29, v19, 16, 1                                  // 0000000033AC: D1C8001D 02052113
	v_add3_u32 v29, v19, v29, v32                              // 0000000033B4: D1FF001D 04823B13
	v_cndmask_b32_e64 v27, v29, v31, s[36:37]                  // 0000000033BC: D100001B 00923F1D
	v_and_or_b32 v25, v27, v30, v26                            // 0000000033C4: D2010019 046A3D1B
	s_nop 1                                                    // 0000000033CC: BF800001
	s_mul_i32 s25, s24, 0x100                                  // 0000000033D0: 9219FF18 00000100
	s_lshl_b32 s25, s25, 2                                     // 0000000033D8: 8E198219
	v_mov_b32_e32 v26, v0                                      // 0000000033DC: 7E340300
	v_lshlrev_b32_e32 v26, 2, v26                              // 0000000033E0: 24343482
	v_add_u32_e64 v26, v26, s25                                // 0000000033E4: D134001A 0000331A
	v_add_u32_e32 v27, 0x100, v26                              // 0000000033EC: 683634FF 00000100
	ds_write_b32 v26, v24                                      // 0000000033F4: D81A0000 0000181A
	ds_write_b32 v27, v25                                      // 0000000033FC: D81A0000 0000191B
	s_barrier                                                  // 000000003404: BF8A0000
	v_lshrrev_b32_e32 v26, 4, v0                               // 000000003408: 20340084
	v_and_b32_e64 v27, v26, 1                                  // 00000000340C: D113001B 0001031A
	v_lshrrev_b32_e32 v28, 1, v26                              // 000000003414: 20383481
	v_lshlrev_b32_e32 v26, 1, v27                              // 000000003418: 24343681
	v_add_u32_e32 v26, v26, v28                                // 00000000341C: 6834391A
	v_lshlrev_b32_e32 v26, 7, v26                              // 000000003420: 24343487
	v_and_b32_e64 v27, v0, 15                                  // 000000003424: D113001B 00011F00
	v_lshlrev_b32_e32 v27, 2, v27                              // 00000000342C: 24363682
	v_add_u32_e32 v26, v27, v26                                // 000000003430: 6834351B
	v_add_u32_e64 v26, v26, s25                                // 000000003434: D134001A 0000331A
	v_add_u32_e32 v27, 64, v26                                 // 00000000343C: 683634C0
	ds_read_b32 v24, v26                                       // 000000003440: D86C0000 1800001A
	ds_read_b32 v25, v27                                       // 000000003448: D86C0000 1900001B
	s_barrier                                                  // 000000003450: BF8A0000
	s_nop 1                                                    // 000000003454: BF800001
	s_mul_i32 s25, s11, 3                                      // 000000003458: 9219830B
	s_lshl_b32 s25, s25, 2                                     // 00000000345C: 8E198219
	s_lshl_b32 s26, 2, 7                                       // 000000003460: 8E1A8782
	v_add_u32_e32 v7, s25, v6                                  // 000000003464: 680E0C19
	v_add_u32_e32 v7, s26, v7                                  // 000000003468: 680E0E1A
	s_mov_b64 exec, s[32:33]                                   // 00000000346C: BEFE0120
	buffer_store_dword v24, v7, s[16:19], 0 offen              // 000000003470: E0701000 80041807
	v_add_u32_e32 v7, s11, v7                                  // 000000003478: 680E0E0B
	buffer_store_dword v25, v7, s[16:19], 0 offen              // 00000000347C: E0701000 80041907
	s_mov_b64 exec, -1                                         // 000000003484: BEFE01C1
	s_waitcnt vmcnt(0) expcnt(0) lgkmcnt(0)                    // 000000003488: BF8C0000
	s_endpgm                                                   // 00000000348C: BF810000
